;; amdgpu-corpus repo=ROCm/rocFFT kind=compiled arch=gfx950 opt=O3
	.text
	.amdgcn_target "amdgcn-amd-amdhsa--gfx950"
	.amdhsa_code_object_version 6
	.protected	fft_rtc_back_len1408_factors_2_2_2_2_2_2_11_2_wgs_176_tpt_176_halfLds_sp_ip_CI_sbrr_dirReg ; -- Begin function fft_rtc_back_len1408_factors_2_2_2_2_2_2_11_2_wgs_176_tpt_176_halfLds_sp_ip_CI_sbrr_dirReg
	.globl	fft_rtc_back_len1408_factors_2_2_2_2_2_2_11_2_wgs_176_tpt_176_halfLds_sp_ip_CI_sbrr_dirReg
	.p2align	8
	.type	fft_rtc_back_len1408_factors_2_2_2_2_2_2_11_2_wgs_176_tpt_176_halfLds_sp_ip_CI_sbrr_dirReg,@function
fft_rtc_back_len1408_factors_2_2_2_2_2_2_11_2_wgs_176_tpt_176_halfLds_sp_ip_CI_sbrr_dirReg: ; @fft_rtc_back_len1408_factors_2_2_2_2_2_2_11_2_wgs_176_tpt_176_halfLds_sp_ip_CI_sbrr_dirReg
; %bb.0:
	s_load_dwordx2 s[12:13], s[0:1], 0x18
	s_load_dwordx4 s[4:7], s[0:1], 0x0
	s_load_dwordx2 s[10:11], s[0:1], 0x50
	v_mul_u32_u24_e32 v1, 0x175, v0
	v_add_u32_sdwa v6, s2, v1 dst_sel:DWORD dst_unused:UNUSED_PAD src0_sel:DWORD src1_sel:WORD_1
	s_waitcnt lgkmcnt(0)
	s_load_dwordx2 s[8:9], s[12:13], 0x0
	v_mov_b32_e32 v4, 0
	v_cmp_lt_u64_e64 s[2:3], s[6:7], 2
	v_mov_b32_e32 v7, v4
	s_and_b64 vcc, exec, s[2:3]
	v_mov_b64_e32 v[2:3], 0
	s_cbranch_vccnz .LBB0_8
; %bb.1:
	s_load_dwordx2 s[2:3], s[0:1], 0x10
	s_add_u32 s14, s12, 8
	s_addc_u32 s15, s13, 0
	s_mov_b64 s[16:17], 1
	v_mov_b64_e32 v[2:3], 0
	s_waitcnt lgkmcnt(0)
	s_add_u32 s18, s2, 8
	s_addc_u32 s19, s3, 0
.LBB0_2:                                ; =>This Inner Loop Header: Depth=1
	s_load_dwordx2 s[20:21], s[18:19], 0x0
                                        ; implicit-def: $vgpr8_vgpr9
	s_waitcnt lgkmcnt(0)
	v_or_b32_e32 v5, s21, v7
	v_cmp_ne_u64_e32 vcc, 0, v[4:5]
	s_and_saveexec_b64 s[2:3], vcc
	s_xor_b64 s[22:23], exec, s[2:3]
	s_cbranch_execz .LBB0_4
; %bb.3:                                ;   in Loop: Header=BB0_2 Depth=1
	v_cvt_f32_u32_e32 v1, s20
	v_cvt_f32_u32_e32 v5, s21
	s_sub_u32 s2, 0, s20
	s_subb_u32 s3, 0, s21
	v_fmac_f32_e32 v1, 0x4f800000, v5
	v_rcp_f32_e32 v1, v1
	s_nop 0
	v_mul_f32_e32 v1, 0x5f7ffffc, v1
	v_mul_f32_e32 v5, 0x2f800000, v1
	v_trunc_f32_e32 v5, v5
	v_fmac_f32_e32 v1, 0xcf800000, v5
	v_cvt_u32_f32_e32 v5, v5
	v_cvt_u32_f32_e32 v1, v1
	v_mul_lo_u32 v8, s2, v5
	v_mul_hi_u32 v10, s2, v1
	v_mul_lo_u32 v9, s3, v1
	v_add_u32_e32 v10, v10, v8
	v_mul_lo_u32 v12, s2, v1
	v_add_u32_e32 v13, v10, v9
	v_mul_hi_u32 v8, v1, v12
	v_mul_hi_u32 v11, v1, v13
	v_mul_lo_u32 v10, v1, v13
	v_mov_b32_e32 v9, v4
	v_lshl_add_u64 v[8:9], v[8:9], 0, v[10:11]
	v_mul_hi_u32 v11, v5, v12
	v_mul_lo_u32 v12, v5, v12
	v_add_co_u32_e32 v8, vcc, v8, v12
	v_mul_hi_u32 v10, v5, v13
	s_nop 0
	v_addc_co_u32_e32 v8, vcc, v9, v11, vcc
	v_mov_b32_e32 v9, v4
	s_nop 0
	v_addc_co_u32_e32 v11, vcc, 0, v10, vcc
	v_mul_lo_u32 v10, v5, v13
	v_lshl_add_u64 v[8:9], v[8:9], 0, v[10:11]
	v_add_co_u32_e32 v1, vcc, v1, v8
	v_mul_lo_u32 v10, s2, v1
	s_nop 0
	v_addc_co_u32_e32 v5, vcc, v5, v9, vcc
	v_mul_lo_u32 v8, s2, v5
	v_mul_hi_u32 v9, s2, v1
	v_add_u32_e32 v8, v9, v8
	v_mul_lo_u32 v9, s3, v1
	v_add_u32_e32 v12, v8, v9
	v_mul_hi_u32 v14, v5, v10
	v_mul_lo_u32 v15, v5, v10
	v_mul_hi_u32 v9, v1, v12
	v_mul_lo_u32 v8, v1, v12
	v_mul_hi_u32 v10, v1, v10
	v_mov_b32_e32 v11, v4
	v_lshl_add_u64 v[8:9], v[10:11], 0, v[8:9]
	v_add_co_u32_e32 v8, vcc, v8, v15
	v_mul_hi_u32 v13, v5, v12
	s_nop 0
	v_addc_co_u32_e32 v8, vcc, v9, v14, vcc
	v_mul_lo_u32 v10, v5, v12
	s_nop 0
	v_addc_co_u32_e32 v11, vcc, 0, v13, vcc
	v_mov_b32_e32 v9, v4
	v_lshl_add_u64 v[8:9], v[8:9], 0, v[10:11]
	v_add_co_u32_e32 v1, vcc, v1, v8
	v_mul_hi_u32 v10, v6, v1
	s_nop 0
	v_addc_co_u32_e32 v5, vcc, v5, v9, vcc
	v_mad_u64_u32 v[8:9], s[2:3], v6, v5, 0
	v_mov_b32_e32 v11, v4
	v_lshl_add_u64 v[8:9], v[10:11], 0, v[8:9]
	v_mad_u64_u32 v[12:13], s[2:3], v7, v1, 0
	v_add_co_u32_e32 v1, vcc, v8, v12
	v_mad_u64_u32 v[10:11], s[2:3], v7, v5, 0
	s_nop 0
	v_addc_co_u32_e32 v8, vcc, v9, v13, vcc
	v_mov_b32_e32 v9, v4
	s_nop 0
	v_addc_co_u32_e32 v11, vcc, 0, v11, vcc
	v_lshl_add_u64 v[8:9], v[8:9], 0, v[10:11]
	v_mul_lo_u32 v1, s21, v8
	v_mul_lo_u32 v5, s20, v9
	v_mad_u64_u32 v[10:11], s[2:3], s20, v8, 0
	v_add3_u32 v1, v11, v5, v1
	v_sub_u32_e32 v5, v7, v1
	v_mov_b32_e32 v11, s21
	v_sub_co_u32_e32 v14, vcc, v6, v10
	v_lshl_add_u64 v[12:13], v[8:9], 0, 1
	s_nop 0
	v_subb_co_u32_e64 v5, s[2:3], v5, v11, vcc
	v_subrev_co_u32_e64 v10, s[2:3], s20, v14
	v_subb_co_u32_e32 v1, vcc, v7, v1, vcc
	s_nop 0
	v_subbrev_co_u32_e64 v5, s[2:3], 0, v5, s[2:3]
	v_cmp_le_u32_e64 s[2:3], s21, v5
	v_cmp_le_u32_e32 vcc, s21, v1
	s_nop 0
	v_cndmask_b32_e64 v11, 0, -1, s[2:3]
	v_cmp_le_u32_e64 s[2:3], s20, v10
	s_nop 1
	v_cndmask_b32_e64 v10, 0, -1, s[2:3]
	v_cmp_eq_u32_e64 s[2:3], s21, v5
	s_nop 1
	v_cndmask_b32_e64 v5, v11, v10, s[2:3]
	v_lshl_add_u64 v[10:11], v[8:9], 0, 2
	v_cmp_ne_u32_e64 s[2:3], 0, v5
	s_nop 1
	v_cndmask_b32_e64 v5, v13, v11, s[2:3]
	v_cndmask_b32_e64 v11, 0, -1, vcc
	v_cmp_le_u32_e32 vcc, s20, v14
	s_nop 1
	v_cndmask_b32_e64 v13, 0, -1, vcc
	v_cmp_eq_u32_e32 vcc, s21, v1
	s_nop 1
	v_cndmask_b32_e32 v1, v11, v13, vcc
	v_cmp_ne_u32_e32 vcc, 0, v1
	v_cndmask_b32_e64 v1, v12, v10, s[2:3]
	s_nop 0
	v_cndmask_b32_e32 v9, v9, v5, vcc
	v_cndmask_b32_e32 v8, v8, v1, vcc
.LBB0_4:                                ;   in Loop: Header=BB0_2 Depth=1
	s_andn2_saveexec_b64 s[2:3], s[22:23]
	s_cbranch_execz .LBB0_6
; %bb.5:                                ;   in Loop: Header=BB0_2 Depth=1
	v_cvt_f32_u32_e32 v1, s20
	s_sub_i32 s22, 0, s20
	v_rcp_iflag_f32_e32 v1, v1
	s_nop 0
	v_mul_f32_e32 v1, 0x4f7ffffe, v1
	v_cvt_u32_f32_e32 v1, v1
	v_mul_lo_u32 v5, s22, v1
	v_mul_hi_u32 v5, v1, v5
	v_add_u32_e32 v1, v1, v5
	v_mul_hi_u32 v1, v6, v1
	v_mul_lo_u32 v5, v1, s20
	v_sub_u32_e32 v5, v6, v5
	v_add_u32_e32 v8, 1, v1
	v_subrev_u32_e32 v9, s20, v5
	v_cmp_le_u32_e32 vcc, s20, v5
	s_nop 1
	v_cndmask_b32_e32 v5, v5, v9, vcc
	v_cndmask_b32_e32 v1, v1, v8, vcc
	v_add_u32_e32 v8, 1, v1
	v_cmp_le_u32_e32 vcc, s20, v5
	v_mov_b32_e32 v9, v4
	s_nop 0
	v_cndmask_b32_e32 v8, v1, v8, vcc
.LBB0_6:                                ;   in Loop: Header=BB0_2 Depth=1
	s_or_b64 exec, exec, s[2:3]
	v_mad_u64_u32 v[10:11], s[2:3], v8, s20, 0
	s_load_dwordx2 s[2:3], s[14:15], 0x0
	v_mul_lo_u32 v1, v9, s20
	v_mul_lo_u32 v5, v8, s21
	v_add3_u32 v1, v11, v5, v1
	v_sub_co_u32_e32 v5, vcc, v6, v10
	s_add_u32 s16, s16, 1
	s_nop 0
	v_subb_co_u32_e32 v1, vcc, v7, v1, vcc
	s_addc_u32 s17, s17, 0
	s_waitcnt lgkmcnt(0)
	v_mul_lo_u32 v1, s2, v1
	v_mul_lo_u32 v6, s3, v5
	v_mad_u64_u32 v[2:3], s[2:3], s2, v5, v[2:3]
	s_add_u32 s14, s14, 8
	v_add3_u32 v3, v6, v3, v1
	s_addc_u32 s15, s15, 0
	v_mov_b64_e32 v[6:7], s[6:7]
	s_add_u32 s18, s18, 8
	v_cmp_ge_u64_e32 vcc, s[16:17], v[6:7]
	s_addc_u32 s19, s19, 0
	s_cbranch_vccnz .LBB0_9
; %bb.7:                                ;   in Loop: Header=BB0_2 Depth=1
	v_mov_b64_e32 v[6:7], v[8:9]
	s_branch .LBB0_2
.LBB0_8:
	v_mov_b64_e32 v[8:9], v[6:7]
.LBB0_9:
	s_lshl_b64 s[2:3], s[6:7], 3
	s_add_u32 s2, s12, s2
	s_addc_u32 s3, s13, s3
	s_load_dwordx2 s[6:7], s[2:3], 0x0
	s_load_dwordx2 s[12:13], s[0:1], 0x20
	s_mov_b32 s2, 0x1745d18
                                        ; implicit-def: $vgpr6
	s_waitcnt lgkmcnt(0)
	v_mul_lo_u32 v1, s6, v9
	v_mul_lo_u32 v4, s7, v8
	v_mad_u64_u32 v[2:3], s[0:1], s6, v8, v[2:3]
	v_add3_u32 v3, v4, v3, v1
	v_mul_hi_u32 v1, v0, s2
	v_mul_u32_u24_e32 v1, 0xb0, v1
	v_cmp_gt_u64_e32 vcc, s[12:13], v[8:9]
	v_cmp_le_u64_e64 s[0:1], s[12:13], v[8:9]
	v_sub_u32_e32 v0, v0, v1
                                        ; implicit-def: $sgpr2_sgpr3
                                        ; implicit-def: $vgpr8
                                        ; implicit-def: $vgpr4
	s_and_saveexec_b64 s[6:7], s[0:1]
	s_xor_b64 s[0:1], exec, s[6:7]
; %bb.10:
	v_add_u32_e32 v8, 0xb0, v0
	v_add_u32_e32 v6, 0x160, v0
	;; [unrolled: 1-line block ×3, first 2 shown]
	s_mov_b64 s[2:3], 0
; %bb.11:
	s_or_saveexec_b64 s[0:1], s[0:1]
	v_mov_b64_e32 v[10:11], s[2:3]
	v_lshl_add_u64 v[2:3], v[2:3], 3, s[10:11]
	v_mov_b64_e32 v[12:13], s[2:3]
	v_mov_b64_e32 v[18:19], s[2:3]
	;; [unrolled: 1-line block ×3, first 2 shown]
                                        ; implicit-def: $vgpr16
                                        ; implicit-def: $vgpr14
                                        ; implicit-def: $vgpr24
                                        ; implicit-def: $vgpr22
	s_xor_b64 exec, exec, s[0:1]
	s_cbranch_execz .LBB0_13
; %bb.12:
	v_mad_u64_u32 v[4:5], s[2:3], s8, v0, 0
	v_mov_b32_e32 v6, v5
	v_mad_u64_u32 v[6:7], s[2:3], s9, v0, v[6:7]
	v_add_u32_e32 v1, 0x2c0, v0
	v_mov_b32_e32 v5, v6
	v_mad_u64_u32 v[6:7], s[2:3], s8, v1, 0
	v_mov_b32_e32 v8, v7
	v_mad_u64_u32 v[8:9], s[2:3], s9, v1, v[8:9]
	v_mov_b32_e32 v7, v8
	v_add_u32_e32 v8, 0xb0, v0
	v_mad_u64_u32 v[10:11], s[2:3], s8, v8, 0
	v_mov_b32_e32 v12, v11
	v_mad_u64_u32 v[12:13], s[2:3], s9, v8, v[12:13]
	v_mov_b32_e32 v11, v12
	v_add_u32_e32 v1, 0x370, v0
	v_lshl_add_u64 v[18:19], v[10:11], 3, v[2:3]
	v_mad_u64_u32 v[10:11], s[2:3], s8, v1, 0
	v_mov_b32_e32 v12, v11
	v_mad_u64_u32 v[12:13], s[2:3], s9, v1, v[12:13]
	v_lshl_add_u64 v[4:5], v[4:5], 3, v[2:3]
	v_lshl_add_u64 v[6:7], v[6:7], 3, v[2:3]
	v_mov_b32_e32 v11, v12
	v_lshl_add_u64 v[20:21], v[10:11], 3, v[2:3]
	global_load_dwordx2 v[10:11], v[4:5], off
	global_load_dwordx2 v[16:17], v[6:7], off
	;; [unrolled: 1-line block ×4, first 2 shown]
	v_add_u32_e32 v6, 0x160, v0
	v_mad_u64_u32 v[4:5], s[2:3], s8, v6, 0
	v_mov_b32_e32 v18, v5
	v_mad_u64_u32 v[18:19], s[2:3], s9, v6, v[18:19]
	v_mov_b32_e32 v5, v18
	v_add_u32_e32 v1, 0x420, v0
	v_lshl_add_u64 v[26:27], v[4:5], 3, v[2:3]
	v_mad_u64_u32 v[4:5], s[2:3], s8, v1, 0
	v_mov_b32_e32 v18, v5
	v_mad_u64_u32 v[18:19], s[2:3], s9, v1, v[18:19]
	v_mov_b32_e32 v5, v18
	v_lshl_add_u64 v[28:29], v[4:5], 3, v[2:3]
	v_add_u32_e32 v4, 0x210, v0
	v_mad_u64_u32 v[18:19], s[2:3], s8, v4, 0
	v_mov_b32_e32 v20, v19
	v_mad_u64_u32 v[20:21], s[2:3], s9, v4, v[20:21]
	v_mov_b32_e32 v19, v20
	v_add_u32_e32 v1, 0x4d0, v0
	v_lshl_add_u64 v[30:31], v[18:19], 3, v[2:3]
	v_mad_u64_u32 v[18:19], s[2:3], s8, v1, 0
	v_mov_b32_e32 v20, v19
	v_mad_u64_u32 v[20:21], s[2:3], s9, v1, v[20:21]
	v_mov_b32_e32 v19, v20
	v_lshl_add_u64 v[32:33], v[18:19], 3, v[2:3]
	global_load_dwordx2 v[18:19], v[26:27], off
	global_load_dwordx2 v[24:25], v[28:29], off
	;; [unrolled: 1-line block ×4, first 2 shown]
.LBB0_13:
	s_or_b64 exec, exec, s[0:1]
	s_waitcnt vmcnt(6)
	v_sub_f32_e32 v29, v11, v17
	v_sub_f32_e32 v27, v10, v16
	v_fma_f32 v28, v11, 2.0, -v29
	s_waitcnt vmcnt(4)
	v_sub_f32_e32 v11, v12, v14
	v_sub_f32_e32 v31, v13, v15
	s_waitcnt vmcnt(2)
	v_sub_f32_e32 v15, v18, v24
	v_fma_f32 v26, v10, 2.0, -v27
	v_fma_f32 v10, v12, 2.0, -v11
	;; [unrolled: 1-line block ×3, first 2 shown]
	s_waitcnt vmcnt(0)
	v_sub_f32_e32 v17, v20, v22
	v_lshl_add_u32 v12, v0, 3, 0
	v_lshlrev_b32_e32 v18, 2, v0
	v_fma_f32 v30, v13, 2.0, -v31
	v_fma_f32 v16, v20, 2.0, -v17
	v_lshl_add_u32 v5, v8, 3, 0
	v_lshl_add_u32 v1, v6, 3, 0
	;; [unrolled: 1-line block ×3, first 2 shown]
	v_sub_u32_e32 v13, v12, v18
	v_lshlrev_b32_e32 v42, 2, v6
	v_sub_f32_e32 v25, v19, v25
	v_sub_f32_e32 v23, v21, v23
	ds_write_b64 v12, v[26:27]
	ds_write_b64 v5, v[10:11]
	;; [unrolled: 1-line block ×4, first 2 shown]
	v_lshlrev_b32_e32 v9, 2, v8
	v_add_u32_e32 v15, 0xd00, v13
	v_sub_u32_e32 v16, v1, v42
	v_lshlrev_b32_e32 v43, 2, v4
	v_fma_f32 v24, v19, 2.0, -v25
	v_fma_f32 v22, v21, 2.0, -v23
	s_waitcnt lgkmcnt(0)
	s_barrier
	ds_read2st64_b32 v[10:11], v13 offset1:11
	v_sub_u32_e32 v14, v5, v9
	ds_read2_b32 v[26:27], v15 offset0:48 offset1:224
	v_sub_u32_e32 v17, v7, v43
	ds_read_b32 v32, v16
	ds_read_b32 v33, v17
	ds_read_b32 v34, v14
	ds_read_b32 v35, v13 offset:4928
	s_waitcnt lgkmcnt(0)
	s_barrier
	ds_write_b64 v12, v[28:29]
	ds_write_b64 v5, v[30:31]
	;; [unrolled: 1-line block ×4, first 2 shown]
	v_and_b32_e32 v23, 1, v0
	v_lshlrev_b32_e32 v19, 3, v23
	s_waitcnt lgkmcnt(0)
	s_barrier
	global_load_dwordx2 v[24:25], v19, s[4:5]
	ds_read2st64_b32 v[28:29], v13 offset1:11
	ds_read2_b32 v[30:31], v15 offset0:48 offset1:224
	ds_read_b32 v36, v16
	ds_read_b32 v37, v17
	;; [unrolled: 1-line block ×3, first 2 shown]
	ds_read_b32 v39, v13 offset:4928
	v_lshlrev_b32_e32 v19, 1, v0
	s_movk_i32 s0, 0x1fc
	v_lshlrev_b32_e32 v20, 1, v8
	v_lshlrev_b32_e32 v21, 1, v6
	s_waitcnt lgkmcnt(0)
	s_barrier
	v_lshlrev_b32_e32 v22, 1, v4
	s_movk_i32 s1, 0x3e0
	s_movk_i32 s2, 0x7c0
	v_sub_u32_e32 v18, 0, v18
	s_movk_i32 s3, 0x80
	s_waitcnt vmcnt(0)
	v_mul_f32_e32 v44, v30, v25
	v_mul_f32_e32 v45, v26, v25
	;; [unrolled: 1-line block ×8, first 2 shown]
	v_fmac_f32_e32 v44, v26, v24
	v_fma_f32 v26, v30, v24, -v45
	v_fmac_f32_e32 v46, v27, v24
	v_fma_f32 v27, v31, v24, -v47
	;; [unrolled: 2-line block ×4, first 2 shown]
	v_sub_f32_e32 v26, v38, v26
	v_sub_f32_e32 v27, v36, v27
	v_fma_f32 v31, v38, 2.0, -v26
	v_fma_f32 v35, v36, 2.0, -v27
	v_sub_f32_e32 v36, v33, v48
	v_sub_f32_e32 v38, v37, v24
	;; [unrolled: 1-line block ×3, first 2 shown]
	v_fma_f32 v24, v33, 2.0, -v36
	v_fma_f32 v33, v37, 2.0, -v38
	v_and_or_b32 v37, v19, s0, v23
	v_fma_f32 v10, v10, 2.0, -v25
	v_lshl_add_u32 v37, v37, 2, 0
	s_movk_i32 s0, 0x3fc
	v_sub_f32_e32 v29, v28, v11
	v_sub_f32_e32 v11, v34, v44
	ds_write2_b32 v37, v10, v25 offset1:2
	v_and_or_b32 v10, v20, s0, v23
	s_movk_i32 s0, 0x7fc
	v_fma_f32 v30, v34, 2.0, -v11
	v_lshl_add_u32 v39, v10, 2, 0
	v_and_or_b32 v10, v21, s0, v23
	v_sub_f32_e32 v34, v32, v46
	ds_write2_b32 v39, v30, v11 offset1:2
	v_lshl_add_u32 v30, v10, 2, 0
	v_and_or_b32 v10, v22, s0, v23
	v_fma_f32 v28, v28, 2.0, -v29
	v_fma_f32 v32, v32, 2.0, -v34
	v_lshl_add_u32 v23, v10, 2, 0
	ds_write2_b32 v30, v32, v34 offset1:2
	ds_write2_b32 v23, v24, v36 offset1:2
	s_waitcnt lgkmcnt(0)
	s_barrier
	ds_read2st64_b32 v[10:11], v13 offset1:11
	ds_read2_b32 v[24:25], v15 offset0:48 offset1:224
	ds_read_b32 v32, v16
	ds_read_b32 v34, v17
	ds_read_b32 v36, v14
	ds_read_b32 v40, v13 offset:4928
	s_waitcnt lgkmcnt(0)
	s_barrier
	ds_write2_b32 v37, v28, v29 offset1:2
	ds_write2_b32 v39, v31, v26 offset1:2
	;; [unrolled: 1-line block ×4, first 2 shown]
	v_and_b32_e32 v23, 3, v0
	v_lshlrev_b32_e32 v26, 3, v23
	s_waitcnt lgkmcnt(0)
	s_barrier
	global_load_dwordx2 v[26:27], v26, s[4:5] offset:16
	ds_read2st64_b32 v[28:29], v13 offset1:11
	ds_read2_b32 v[30:31], v15 offset0:48 offset1:224
	ds_read_b32 v33, v16
	ds_read_b32 v35, v17
	;; [unrolled: 1-line block ×3, first 2 shown]
	ds_read_b32 v38, v13 offset:4928
	s_movk_i32 s0, 0x1f8
	s_waitcnt lgkmcnt(0)
	s_barrier
	s_waitcnt vmcnt(0)
	v_mul_f32_e32 v39, v29, v27
	v_mul_f32_e32 v41, v11, v27
	;; [unrolled: 1-line block ×8, first 2 shown]
	v_fmac_f32_e32 v39, v11, v26
	v_fma_f32 v11, v29, v26, -v41
	v_fmac_f32_e32 v44, v24, v26
	v_fma_f32 v24, v30, v26, -v45
	;; [unrolled: 2-line block ×4, first 2 shown]
	v_sub_f32_e32 v27, v10, v39
	v_and_or_b32 v38, v19, s0, v23
	v_fma_f32 v10, v10, 2.0, -v27
	v_lshl_add_u32 v38, v38, 2, 0
	s_movk_i32 s0, 0x3f8
	ds_write2_b32 v38, v10, v27 offset1:4
	v_and_or_b32 v10, v20, s0, v23
	s_movk_i32 s0, 0x7f8
	v_sub_f32_e32 v29, v28, v11
	v_sub_f32_e32 v11, v36, v44
	;; [unrolled: 1-line block ×3, first 2 shown]
	v_lshl_add_u32 v27, v10, 2, 0
	v_and_or_b32 v10, v21, s0, v23
	v_sub_f32_e32 v24, v32, v46
	v_sub_f32_e32 v31, v33, v25
	v_fma_f32 v25, v36, 2.0, -v11
	v_fma_f32 v36, v37, 2.0, -v30
	v_sub_f32_e32 v37, v34, v48
	v_lshl_add_u32 v39, v10, 2, 0
	v_and_or_b32 v10, v22, s0, v23
	v_fma_f32 v28, v28, 2.0, -v29
	v_fma_f32 v32, v32, 2.0, -v24
	v_sub_f32_e32 v26, v35, v26
	v_fma_f32 v34, v34, 2.0, -v37
	v_lshl_add_u32 v23, v10, 2, 0
	v_fma_f32 v33, v33, 2.0, -v31
	v_fma_f32 v35, v35, 2.0, -v26
	ds_write2_b32 v27, v25, v11 offset1:4
	ds_write2_b32 v39, v32, v24 offset1:4
	;; [unrolled: 1-line block ×3, first 2 shown]
	s_waitcnt lgkmcnt(0)
	s_barrier
	ds_read2st64_b32 v[10:11], v13 offset1:11
	ds_read2_b32 v[24:25], v15 offset0:48 offset1:224
	ds_read_b32 v32, v16
	ds_read_b32 v34, v17
	;; [unrolled: 1-line block ×3, first 2 shown]
	ds_read_b32 v40, v13 offset:4928
	s_waitcnt lgkmcnt(0)
	s_barrier
	ds_write2_b32 v38, v28, v29 offset1:4
	ds_write2_b32 v27, v36, v30 offset1:4
	ds_write2_b32 v39, v33, v31 offset1:4
	ds_write2_b32 v23, v35, v26 offset1:4
	v_and_b32_e32 v23, 7, v0
	v_lshlrev_b32_e32 v26, 3, v23
	s_waitcnt lgkmcnt(0)
	s_barrier
	global_load_dwordx2 v[26:27], v26, s[4:5] offset:48
	ds_read2st64_b32 v[28:29], v13 offset1:11
	ds_read2_b32 v[30:31], v15 offset0:48 offset1:224
	ds_read_b32 v33, v16
	ds_read_b32 v35, v17
	ds_read_b32 v36, v14
	ds_read_b32 v38, v13 offset:4928
	s_movk_i32 s0, 0x1f0
	s_waitcnt lgkmcnt(0)
	s_barrier
	s_waitcnt vmcnt(0)
	v_mul_f32_e32 v39, v29, v27
	v_mul_f32_e32 v41, v11, v27
	;; [unrolled: 1-line block ×8, first 2 shown]
	v_fmac_f32_e32 v39, v11, v26
	v_fma_f32 v11, v29, v26, -v41
	v_fmac_f32_e32 v44, v24, v26
	v_fma_f32 v24, v30, v26, -v45
	;; [unrolled: 2-line block ×4, first 2 shown]
	v_sub_f32_e32 v27, v10, v39
	v_and_or_b32 v38, v19, s0, v23
	v_fma_f32 v10, v10, 2.0, -v27
	v_lshl_add_u32 v38, v38, 2, 0
	s_movk_i32 s0, 0x3f0
	v_sub_f32_e32 v29, v28, v11
	v_sub_f32_e32 v11, v37, v44
	ds_write2_b32 v38, v10, v27 offset1:8
	v_and_or_b32 v10, v20, s0, v23
	s_movk_i32 s0, 0x7f0
	v_fma_f32 v37, v37, 2.0, -v11
	v_lshl_add_u32 v27, v10, 2, 0
	v_and_or_b32 v10, v21, s0, v23
	v_sub_f32_e32 v30, v36, v24
	v_sub_f32_e32 v24, v32, v46
	;; [unrolled: 1-line block ×4, first 2 shown]
	ds_write2_b32 v27, v37, v11 offset1:8
	v_lshl_add_u32 v37, v10, 2, 0
	v_and_or_b32 v10, v22, s0, v23
	v_sub_f32_e32 v26, v35, v26
	v_fma_f32 v28, v28, 2.0, -v29
	v_fma_f32 v32, v32, 2.0, -v24
	;; [unrolled: 1-line block ×3, first 2 shown]
	v_lshl_add_u32 v23, v10, 2, 0
	v_fma_f32 v36, v36, 2.0, -v30
	v_fma_f32 v33, v33, 2.0, -v31
	;; [unrolled: 1-line block ×3, first 2 shown]
	ds_write2_b32 v37, v32, v24 offset1:8
	ds_write2_b32 v23, v34, v25 offset1:8
	s_waitcnt lgkmcnt(0)
	s_barrier
	ds_read2st64_b32 v[10:11], v13 offset1:11
	ds_read2_b32 v[24:25], v15 offset0:48 offset1:224
	ds_read_b32 v32, v16
	ds_read_b32 v34, v17
	;; [unrolled: 1-line block ×3, first 2 shown]
	ds_read_b32 v40, v13 offset:4928
	s_waitcnt lgkmcnt(0)
	s_barrier
	ds_write2_b32 v38, v28, v29 offset1:8
	ds_write2_b32 v27, v36, v30 offset1:8
	;; [unrolled: 1-line block ×4, first 2 shown]
	v_and_b32_e32 v23, 15, v0
	v_lshlrev_b32_e32 v26, 3, v23
	s_waitcnt lgkmcnt(0)
	s_barrier
	global_load_dwordx2 v[26:27], v26, s[4:5] offset:112
	s_movk_i32 s0, 0x1e0
	v_and_or_b32 v28, v19, s0, v23
	v_lshl_add_u32 v35, v28, 2, 0
	ds_read2st64_b32 v[28:29], v13 offset1:11
	ds_read2_b32 v[30:31], v15 offset0:48 offset1:224
	ds_read_b32 v36, v16
	ds_read_b32 v37, v17
	;; [unrolled: 1-line block ×3, first 2 shown]
	ds_read_b32 v41, v13 offset:4928
	s_movk_i32 s0, 0x7e0
	v_and_or_b32 v33, v20, s1, v23
	s_waitcnt lgkmcnt(0)
	s_barrier
	s_movk_i32 s1, 0x3c0
	s_waitcnt vmcnt(0)
	v_mul_f32_e32 v44, v29, v27
	v_mul_f32_e32 v45, v11, v27
	;; [unrolled: 1-line block ×8, first 2 shown]
	v_fmac_f32_e32 v44, v11, v26
	v_fma_f32 v11, v29, v26, -v45
	v_fmac_f32_e32 v46, v24, v26
	v_fma_f32 v24, v30, v26, -v47
	;; [unrolled: 2-line block ×4, first 2 shown]
	v_sub_f32_e32 v27, v10, v44
	v_fma_f32 v10, v10, 2.0, -v27
	ds_write2_b32 v35, v10, v27 offset1:16
	v_and_or_b32 v10, v21, s0, v23
	v_sub_f32_e32 v29, v28, v11
	v_sub_f32_e32 v11, v39, v46
	;; [unrolled: 1-line block ×6, first 2 shown]
	v_lshl_add_u32 v27, v33, 2, 0
	v_lshl_add_u32 v33, v10, 2, 0
	v_and_or_b32 v10, v22, s0, v23
	v_sub_f32_e32 v26, v37, v26
	v_fma_f32 v28, v28, 2.0, -v29
	v_fma_f32 v39, v39, 2.0, -v11
	;; [unrolled: 1-line block ×4, first 2 shown]
	v_lshl_add_u32 v23, v10, 2, 0
	v_fma_f32 v38, v38, 2.0, -v30
	v_fma_f32 v36, v36, 2.0, -v31
	;; [unrolled: 1-line block ×3, first 2 shown]
	ds_write2_b32 v27, v39, v11 offset1:16
	ds_write2_b32 v33, v32, v24 offset1:16
	;; [unrolled: 1-line block ×3, first 2 shown]
	s_waitcnt lgkmcnt(0)
	s_barrier
	ds_read2st64_b32 v[24:25], v13 offset1:11
	ds_read2_b32 v[10:11], v15 offset0:48 offset1:224
	ds_read_b32 v50, v16
	ds_read_b32 v39, v17
	;; [unrolled: 1-line block ×3, first 2 shown]
	ds_read_b32 v32, v13 offset:4928
	s_waitcnt lgkmcnt(0)
	s_barrier
	ds_write2_b32 v35, v28, v29 offset1:16
	ds_write2_b32 v27, v38, v30 offset1:16
	;; [unrolled: 1-line block ×4, first 2 shown]
	v_and_b32_e32 v23, 31, v0
	v_lshlrev_b32_e32 v30, 3, v23
	v_and_b32_e32 v33, 31, v8
	v_and_b32_e32 v34, 31, v4
	s_waitcnt lgkmcnt(0)
	s_barrier
	v_lshlrev_b32_e32 v31, 3, v33
	global_load_dwordx2 v[26:27], v30, s[4:5] offset:240
	global_load_dwordx2 v[28:29], v31, s[4:5] offset:240
	v_lshlrev_b32_e32 v30, 3, v34
	global_load_dwordx2 v[30:31], v30, s[4:5] offset:240
	v_and_or_b32 v20, v20, s1, v33
	v_and_or_b32 v22, v22, s2, v34
	ds_read2st64_b32 v[34:35], v13 offset1:11
	ds_read2_b32 v[40:41], v15 offset0:48 offset1:224
	ds_read_b32 v37, v16
	ds_read_b32 v38, v17
	;; [unrolled: 1-line block ×3, first 2 shown]
	ds_read_b32 v36, v13 offset:4928
	v_add_u32_e32 v44, v12, v18
	v_add_f32_e32 v51, v39, v39
	s_movk_i32 s0, 0x1c0
	v_add_f32_e32 v53, v50, v50
	v_and_or_b32 v19, v19, s0, v23
	v_and_or_b32 v21, v21, s2, v23
	v_lshl_add_u32 v49, v20, 2, 0
	v_lshl_add_u32 v48, v19, 2, 0
	;; [unrolled: 1-line block ×3, first 2 shown]
	v_add_f32_e32 v19, v52, v52
	v_mov_b32_e32 v18, v24
	v_cmp_gt_u32_e64 s[0:1], s3, v0
	v_lshl_add_u32 v45, v22, 2, 0
	v_lshl_add_u32 v46, v0, 2, 0
	s_waitcnt lgkmcnt(0)
	s_barrier
	s_waitcnt lgkmcnt(0)
                                        ; implicit-def: $vgpr23
	s_waitcnt vmcnt(2)
	v_mul_f32_e32 v14, v41, v27
	v_fmac_f32_e32 v14, v11, v26
	s_waitcnt vmcnt(1)
	v_mul_f32_e32 v16, v40, v29
	s_waitcnt vmcnt(0)
	v_mul_f32_e32 v12, v36, v31
	v_fmac_f32_e32 v12, v32, v30
	v_sub_f32_e32 v15, v39, v12
	v_pk_add_f32 v[12:13], v[50:51], v[14:15] neg_lo:[0,1] neg_hi:[0,1]
	v_fmac_f32_e32 v16, v10, v28
	v_mov_b32_e32 v17, v12
	v_mul_f32_e32 v20, v35, v27
	v_pk_add_f32 v[16:17], v[52:53], v[16:17] neg_lo:[0,1] neg_hi:[0,1]
	v_fmac_f32_e32 v20, v25, v26
	v_mov_b32_e32 v21, v16
	v_pk_add_f32 v[20:21], v[18:19], v[20:21] neg_lo:[0,1] neg_hi:[0,1]
                                        ; implicit-def: $vgpr19
	s_nop 0
	v_fma_f32 v14, v24, 2.0, -v20
	ds_write2_b32 v48, v14, v20 offset1:32
	ds_write2_b32 v49, v21, v16 offset1:32
	;; [unrolled: 1-line block ×4, first 2 shown]
	s_waitcnt lgkmcnt(0)
	s_barrier
	s_and_saveexec_b64 s[2:3], s[0:1]
	s_cbranch_execz .LBB0_15
; %bb.14:
	ds_read_b32 v14, v44
	ds_read2st64_b32 v[20:21], v46 offset0:2 offset1:4
	ds_read2st64_b32 v[16:17], v46 offset0:6 offset1:8
	;; [unrolled: 1-line block ×5, first 2 shown]
	s_waitcnt lgkmcnt(1)
	v_mov_b32_e32 v15, v22
.LBB0_15:
	s_or_b64 exec, exec, s[2:3]
	v_mul_f32_e32 v10, v10, v29
	v_mul_f32_e32 v22, v25, v27
	v_fma_f32 v29, v40, v28, -v10
	v_mul_f32_e32 v10, v11, v27
	v_fma_f32 v25, v35, v26, -v22
	v_fma_f32 v27, v41, v26, -v10
	v_mul_f32_e32 v10, v36, v30
	v_mul_f32_e32 v24, v32, v31
	v_mov_b32_e32 v11, v34
	v_add_f32_e32 v39, v34, v34
	v_pk_add_f32 v[34:35], v[10:11], v[24:25] neg_lo:[0,1] neg_hi:[0,1]
	v_add_f32_e32 v36, v38, v38
	v_pk_add_f32 v[10:11], v[38:39], v[34:35] neg_lo:[0,1] neg_hi:[0,1]
	v_add_f32_e32 v32, v37, v37
	v_mov_b32_e32 v26, v10
	v_pk_add_f32 v[24:25], v[36:37], v[26:27] neg_lo:[0,1] neg_hi:[0,1]
	s_waitcnt lgkmcnt(0)
	v_mov_b32_e32 v28, v25
	v_pk_add_f32 v[26:27], v[32:33], v[28:29] neg_lo:[0,1] neg_hi:[0,1]
	s_barrier
	v_fma_f32 v29, v33, 2.0, -v27
	ds_write2_b32 v48, v11, v35 offset1:32
	ds_write2_b32 v49, v29, v27 offset1:32
	;; [unrolled: 1-line block ×4, first 2 shown]
	s_waitcnt lgkmcnt(0)
	s_barrier
	s_waitcnt lgkmcnt(0)
                                        ; implicit-def: $vgpr33
                                        ; implicit-def: $vgpr31
	s_and_saveexec_b64 s[2:3], s[0:1]
	s_cbranch_execz .LBB0_17
; %bb.16:
	ds_read_b32 v11, v44
	ds_read2st64_b32 v[30:31], v46 offset0:14 offset1:16
	ds_read2st64_b32 v[26:27], v46 offset0:10 offset1:12
	;; [unrolled: 1-line block ×5, first 2 shown]
	s_waitcnt lgkmcnt(4)
	v_mov_b32_e32 v10, v30
	s_waitcnt lgkmcnt(3)
	v_mov_b32_e32 v24, v27
	v_mov_b32_e32 v25, v26
	s_waitcnt lgkmcnt(1)
	v_mov_b32_e32 v26, v35
	v_mov_b32_e32 v27, v34
	;; [unrolled: 1-line block ×3, first 2 shown]
.LBB0_17:
	s_or_b64 exec, exec, s[2:3]
	v_and_b32_e32 v22, 63, v0
	v_mul_u32_u24_e32 v28, 10, v22
	v_lshlrev_b32_e32 v28, 3, v28
	global_load_dwordx4 v[46:49], v28, s[4:5] offset:496
	global_load_dwordx4 v[50:53], v28, s[4:5] offset:512
	;; [unrolled: 1-line block ×5, first 2 shown]
	v_sub_u32_e32 v45, 0, v9
	v_sub_u32_e32 v41, 0, v43
	v_sub_u32_e32 v42, 0, v42
	s_waitcnt lgkmcnt(0)
	s_barrier
	s_waitcnt vmcnt(4)
	v_mul_f32_e32 v38, v35, v47
	v_mul_f32_e32 v9, v20, v47
	;; [unrolled: 1-line block ×4, first 2 shown]
	s_waitcnt vmcnt(3)
	v_mul_f32_e32 v30, v27, v51
	v_mul_f32_e32 v39, v16, v51
	;; [unrolled: 1-line block ×4, first 2 shown]
	v_fma_f32 v40, v35, v46, -v9
	s_waitcnt vmcnt(2)
	v_mul_f32_e32 v9, v25, v55
	v_mul_f32_e32 v49, v12, v55
	v_fmac_f32_e32 v38, v20, v46
	v_fmac_f32_e32 v36, v21, v48
	v_mul_f32_e32 v21, v24, v57
	v_mul_f32_e32 v20, v13, v57
	v_fma_f32 v35, v29, v48, -v34
	s_waitcnt vmcnt(1)
	v_mul_f32_e32 v29, v10, v59
	v_mul_f32_e32 v46, v15, v59
	;; [unrolled: 1-line block ×4, first 2 shown]
	s_waitcnt vmcnt(0)
	v_mul_f32_e32 v37, v32, v63
	v_mul_f32_e32 v51, v18, v63
	v_fmac_f32_e32 v30, v16, v50
	v_mul_f32_e32 v43, v33, v65
	v_mul_f32_e32 v16, v19, v65
	v_fmac_f32_e32 v28, v17, v52
	v_fma_f32 v27, v27, v50, -v39
	v_fma_f32 v26, v26, v52, -v47
	v_fmac_f32_e32 v9, v12, v54
	v_fma_f32 v17, v25, v54, -v49
	v_fmac_f32_e32 v21, v13, v56
	;; [unrolled: 2-line block ×6, first 2 shown]
	v_fma_f32 v33, v33, v64, -v16
	v_lshrrev_b32_e32 v13, 6, v0
	s_and_saveexec_b64 s[2:3], s[0:1]
	s_cbranch_execz .LBB0_19
; %bb.18:
	v_sub_f32_e32 v12, v40, v33
	v_add_f32_e32 v10, v38, v43
	v_mul_f32_e32 v15, 0xbe903f40, v12
	s_mov_b32 s6, 0xbf75a155
	v_sub_f32_e32 v19, v35, v39
	v_fma_f32 v16, v10, s6, -v15
	v_add_f32_e32 v18, v36, v37
	v_mul_f32_e32 v20, 0x3f0a6770, v19
	s_mov_b32 s7, 0x3f575c64
	v_add_f32_e32 v16, v14, v16
	v_fma_f32 v31, v18, s7, -v20
	v_sub_f32_e32 v32, v27, v23
	v_add_f32_e32 v16, v31, v16
	v_add_f32_e32 v31, v30, v34
	v_mul_f32_e32 v46, 0xbf4178ce, v32
	s_mov_b32 s10, 0xbf27a4f4
	v_fma_f32 v47, v31, s10, -v46
	v_sub_f32_e32 v48, v26, v25
	v_fmac_f32_e32 v15, 0xbf75a155, v10
	v_add_f32_e32 v16, v47, v16
	v_add_f32_e32 v47, v28, v29
	v_mul_f32_e32 v49, 0x3f68dda4, v48
	s_mov_b32 s11, 0x3ed4b147
	v_add_f32_e32 v15, v14, v15
	v_fmac_f32_e32 v20, 0x3f575c64, v18
	v_fma_f32 v50, v47, s11, -v49
	v_sub_f32_e32 v51, v17, v24
	v_add_f32_e32 v15, v20, v15
	v_fmac_f32_e32 v46, 0xbf27a4f4, v31
	v_add_f32_e32 v16, v50, v16
	v_add_f32_e32 v50, v9, v21
	v_mul_f32_e32 v52, 0xbf7d64f0, v51
	s_mov_b32 s12, 0xbe11bafb
	v_add_f32_e32 v15, v46, v15
	v_fmac_f32_e32 v49, 0x3ed4b147, v47
	v_mul_f32_e32 v20, 0xbf4178ce, v12
	v_fma_f32 v53, v50, s12, -v52
	v_add_f32_e32 v15, v49, v15
	v_fmac_f32_e32 v52, 0xbe11bafb, v50
	v_fma_f32 v46, v10, s10, -v20
	v_mul_f32_e32 v49, 0x3f7d64f0, v19
	v_add_f32_e32 v15, v52, v15
	v_add_f32_e32 v46, v14, v46
	v_fma_f32 v52, v18, s12, -v49
	v_add_f32_e32 v46, v52, v46
	v_mul_f32_e32 v52, 0xbf0a6770, v32
	v_add_f32_e32 v16, v53, v16
	v_fma_f32 v53, v31, s7, -v52
	v_fmac_f32_e32 v20, 0xbf27a4f4, v10
	v_add_f32_e32 v46, v53, v46
	v_mul_f32_e32 v53, 0xbe903f40, v48
	v_add_f32_e32 v20, v14, v20
	v_fmac_f32_e32 v49, 0xbe11bafb, v18
	v_fma_f32 v54, v47, s6, -v53
	v_add_f32_e32 v20, v49, v20
	v_fmac_f32_e32 v52, 0x3f575c64, v31
	v_add_f32_e32 v46, v54, v46
	v_mul_f32_e32 v54, 0x3f68dda4, v51
	v_add_f32_e32 v20, v52, v20
	v_fmac_f32_e32 v53, 0xbf75a155, v47
	v_mul_f32_e32 v49, 0xbf7d64f0, v12
	v_fma_f32 v55, v50, s11, -v54
	v_add_f32_e32 v20, v53, v20
	v_fmac_f32_e32 v54, 0x3ed4b147, v50
	v_fma_f32 v52, v10, s12, -v49
	v_mul_f32_e32 v53, 0x3e903f40, v19
	v_add_f32_e32 v20, v54, v20
	v_add_f32_e32 v52, v14, v52
	v_fma_f32 v54, v18, s6, -v53
	v_add_f32_e32 v52, v54, v52
	v_mul_f32_e32 v54, 0x3f68dda4, v32
	v_add_f32_e32 v46, v55, v46
	v_fma_f32 v55, v31, s11, -v54
	v_fmac_f32_e32 v49, 0xbe11bafb, v10
	v_add_f32_e32 v52, v55, v52
	v_mul_f32_e32 v55, 0xbf0a6770, v48
	v_add_f32_e32 v49, v14, v49
	v_fmac_f32_e32 v53, 0xbf75a155, v18
	v_fma_f32 v56, v47, s7, -v55
	v_add_f32_e32 v49, v53, v49
	v_fmac_f32_e32 v54, 0x3ed4b147, v31
	v_add_f32_e32 v52, v56, v52
	v_mul_f32_e32 v56, 0xbf4178ce, v51
	v_add_f32_e32 v49, v54, v49
	v_fmac_f32_e32 v55, 0x3f575c64, v47
	v_mul_f32_e32 v53, 0xbf68dda4, v12
	v_fma_f32 v57, v50, s10, -v56
	v_add_f32_e32 v49, v55, v49
	v_fmac_f32_e32 v56, 0xbf27a4f4, v50
	v_fma_f32 v54, v10, s11, -v53
	v_mul_f32_e32 v55, 0xbf4178ce, v19
	v_fmac_f32_e32 v53, 0x3ed4b147, v10
	v_add_f32_e32 v49, v56, v49
	v_fma_f32 v56, v18, s10, -v55
	v_add_f32_e32 v53, v14, v53
	v_fmac_f32_e32 v55, 0xbf27a4f4, v18
	v_mul_f32_e32 v12, 0xbf0a6770, v12
	v_add_f32_e32 v53, v55, v53
	v_fma_f32 v55, v10, s7, -v12
	v_fmac_f32_e32 v12, 0x3f575c64, v10
	v_add_f32_e32 v10, v14, v12
	v_add_f32_e32 v12, v14, v38
	;; [unrolled: 1-line block ×6, first 2 shown]
	v_mul_f32_e32 v56, 0x3e903f40, v32
	v_add_f32_e32 v12, v12, v28
	v_add_f32_e32 v52, v57, v52
	v_fma_f32 v57, v31, s6, -v56
	v_fmac_f32_e32 v56, 0xbf75a155, v31
	v_mul_f32_e32 v19, 0xbf68dda4, v19
	v_add_f32_e32 v12, v12, v9
	v_add_f32_e32 v54, v57, v54
	v_mul_f32_e32 v57, 0x3f7d64f0, v48
	v_add_f32_e32 v53, v56, v53
	v_add_f32_e32 v55, v14, v55
	v_fma_f32 v56, v18, s11, -v19
	v_mul_f32_e32 v32, 0xbf7d64f0, v32
	v_fmac_f32_e32 v19, 0x3ed4b147, v18
	v_add_f32_e32 v12, v12, v21
	v_fma_f32 v58, v47, s12, -v57
	v_add_f32_e32 v55, v56, v55
	v_fma_f32 v56, v31, s12, -v32
	v_mul_f32_e32 v48, 0xbf4178ce, v48
	v_add_f32_e32 v10, v19, v10
	v_fmac_f32_e32 v32, 0xbe11bafb, v31
	v_add_f32_e32 v12, v12, v29
	v_add_f32_e32 v54, v58, v54
	v_mul_f32_e32 v58, 0x3f0a6770, v51
	v_add_f32_e32 v55, v56, v55
	v_fma_f32 v56, v47, s10, -v48
	v_mul_f32_e32 v51, 0xbe903f40, v51
	v_add_f32_e32 v10, v32, v10
	v_fmac_f32_e32 v48, 0xbf27a4f4, v47
	v_add_f32_e32 v12, v12, v34
	v_mul_u32_u24_e32 v14, 0x2c0, v13
	v_fmac_f32_e32 v57, 0xbe11bafb, v47
	v_add_f32_e32 v55, v56, v55
	v_fma_f32 v56, v50, s6, -v51
	v_add_f32_e32 v10, v48, v10
	v_fmac_f32_e32 v51, 0xbf75a155, v50
	v_add_f32_e32 v12, v12, v37
	v_or_b32_e32 v14, v14, v22
	v_fma_f32 v59, v50, s7, -v58
	v_add_f32_e32 v53, v57, v53
	v_fmac_f32_e32 v58, 0x3f575c64, v50
	v_add_f32_e32 v10, v51, v10
	v_add_f32_e32 v12, v12, v43
	v_lshl_add_u32 v14, v14, 2, 0
	v_add_f32_e32 v54, v59, v54
	v_add_f32_e32 v53, v58, v53
	;; [unrolled: 1-line block ×3, first 2 shown]
	ds_write2st64_b32 v14, v12, v10 offset1:1
	ds_write2st64_b32 v14, v53, v49 offset0:2 offset1:3
	ds_write2st64_b32 v14, v20, v15 offset0:4 offset1:5
	;; [unrolled: 1-line block ×4, first 2 shown]
	ds_write_b32 v14, v55 offset:2560
.LBB0_19:
	s_or_b64 exec, exec, s[2:3]
	v_add_u32_e32 v31, v5, v45
	v_add_u32_e32 v5, 0xd00, v44
	s_waitcnt lgkmcnt(0)
	s_barrier
	ds_read2st64_b32 v[18:19], v44 offset1:11
	ds_read2_b32 v[14:15], v5 offset0:48 offset1:224
	v_add_u32_e32 v32, v1, v42
	v_add_u32_e32 v7, v7, v41
	ds_read_b32 v20, v31
	ds_read_b32 v16, v32
	ds_read_b32 v10, v7
	ds_read_b32 v12, v44 offset:4928
	s_waitcnt lgkmcnt(0)
	s_barrier
	s_and_saveexec_b64 s[2:3], s[0:1]
	s_cbranch_execz .LBB0_21
; %bb.20:
	v_add_f32_e32 v1, v11, v40
	v_add_f32_e32 v1, v1, v35
	;; [unrolled: 1-line block ×11, first 2 shown]
	v_sub_f32_e32 v33, v38, v43
	v_mul_f32_e32 v38, 0x3f575c64, v5
	v_mul_f32_e32 v41, 0x3ed4b147, v5
	;; [unrolled: 1-line block ×5, first 2 shown]
	v_fmamk_f32 v40, v33, 0x3f0a6770, v38
	v_fmac_f32_e32 v38, 0xbf0a6770, v33
	v_fmamk_f32 v42, v33, 0x3f68dda4, v41
	v_fmac_f32_e32 v41, 0xbf68dda4, v33
	;; [unrolled: 2-line block ×5, first 2 shown]
	v_add_f32_e32 v40, v11, v40
	v_add_f32_e32 v38, v11, v38
	;; [unrolled: 1-line block ×11, first 2 shown]
	v_sub_f32_e32 v33, v36, v37
	v_mul_f32_e32 v35, 0x3ed4b147, v11
	v_fmamk_f32 v36, v33, 0x3f68dda4, v35
	v_fmac_f32_e32 v35, 0xbf68dda4, v33
	v_mul_f32_e32 v37, 0xbf27a4f4, v11
	v_add_f32_e32 v35, v35, v38
	v_fmamk_f32 v38, v33, 0x3f4178ce, v37
	v_fmac_f32_e32 v37, 0xbf4178ce, v33
	v_mul_f32_e32 v39, 0xbf75a155, v11
	v_add_f32_e32 v36, v36, v40
	v_add_f32_e32 v37, v37, v41
	v_fmamk_f32 v40, v33, 0xbe903f40, v39
	v_fmac_f32_e32 v39, 0x3e903f40, v33
	v_mul_f32_e32 v41, 0xbe11bafb, v11
	v_mul_f32_e32 v11, 0x3f575c64, v11
	v_add_f32_e32 v39, v39, v43
	v_fmamk_f32 v43, v33, 0xbf0a6770, v11
	v_fmac_f32_e32 v11, 0x3f0a6770, v33
	v_add_f32_e32 v5, v11, v5
	v_add_f32_e32 v11, v27, v23
	v_sub_f32_e32 v23, v30, v34
	v_mul_f32_e32 v27, 0xbe11bafb, v11
	v_add_f32_e32 v38, v38, v42
	v_fmamk_f32 v42, v33, 0xbf7d64f0, v41
	v_fmac_f32_e32 v41, 0x3f7d64f0, v33
	v_fmamk_f32 v30, v23, 0x3f7d64f0, v27
	v_fmac_f32_e32 v27, 0xbf7d64f0, v23
	v_mul_f32_e32 v33, 0xbf75a155, v11
	v_add_f32_e32 v27, v27, v35
	v_fmamk_f32 v34, v23, 0xbe903f40, v33
	v_fmac_f32_e32 v33, 0x3e903f40, v23
	v_mul_f32_e32 v35, 0x3ed4b147, v11
	v_add_f32_e32 v30, v30, v36
	v_add_f32_e32 v33, v33, v37
	v_fmamk_f32 v36, v23, 0xbf68dda4, v35
	v_fmac_f32_e32 v35, 0x3f68dda4, v23
	v_mul_f32_e32 v37, 0x3f575c64, v11
	v_mul_f32_e32 v11, 0xbf27a4f4, v11
	v_add_f32_e32 v35, v35, v39
	v_fmamk_f32 v39, v23, 0x3f4178ce, v11
	v_fmac_f32_e32 v11, 0xbf4178ce, v23
	v_add_f32_e32 v5, v11, v5
	v_add_f32_e32 v11, v26, v25
	;; [unrolled: 1-line block ×3, first 2 shown]
	v_fmamk_f32 v38, v23, 0x3f0a6770, v37
	v_fmac_f32_e32 v37, 0xbf0a6770, v23
	v_sub_f32_e32 v23, v28, v29
	v_mul_f32_e32 v25, 0xbf27a4f4, v11
	v_fmamk_f32 v26, v23, 0x3f4178ce, v25
	v_fmac_f32_e32 v25, 0xbf4178ce, v23
	v_add_f32_e32 v25, v25, v27
	v_mul_f32_e32 v27, 0xbe11bafb, v11
	v_fmamk_f32 v28, v23, 0xbf7d64f0, v27
	v_fmac_f32_e32 v27, 0x3f7d64f0, v23
	v_mul_f32_e32 v29, 0x3f575c64, v11
	v_add_f32_e32 v26, v26, v30
	v_add_f32_e32 v27, v27, v33
	v_fmamk_f32 v30, v23, 0x3f0a6770, v29
	v_fmac_f32_e32 v29, 0xbf0a6770, v23
	v_mul_f32_e32 v33, 0xbf75a155, v11
	v_mul_f32_e32 v11, 0x3ed4b147, v11
	v_add_f32_e32 v29, v29, v35
	v_fmamk_f32 v35, v23, 0xbf68dda4, v11
	v_fmac_f32_e32 v11, 0x3f68dda4, v23
	v_add_f32_e32 v5, v11, v5
	v_add_f32_e32 v11, v17, v24
	v_sub_f32_e32 v9, v9, v21
	v_mul_f32_e32 v17, 0xbf75a155, v11
	v_add_f32_e32 v28, v28, v34
	v_fmamk_f32 v34, v23, 0x3e903f40, v33
	v_fmac_f32_e32 v33, 0xbe903f40, v23
	v_fmamk_f32 v21, v9, 0x3e903f40, v17
	v_fmac_f32_e32 v17, 0xbe903f40, v9
	v_mul_f32_e32 v23, 0x3f575c64, v11
	v_add_f32_e32 v17, v17, v25
	v_fmamk_f32 v24, v9, 0xbf0a6770, v23
	v_fmac_f32_e32 v23, 0x3f0a6770, v9
	v_mul_f32_e32 v25, 0xbf27a4f4, v11
	v_add_f32_e32 v21, v21, v26
	v_add_f32_e32 v23, v23, v27
	v_fmamk_f32 v26, v9, 0x3f4178ce, v25
	v_fmac_f32_e32 v25, 0xbf4178ce, v9
	v_mul_f32_e32 v27, 0x3ed4b147, v11
	v_mul_f32_e32 v11, 0xbe11bafb, v11
	v_add_f32_e32 v40, v40, v45
	v_add_f32_e32 v42, v42, v47
	v_add_f32_e32 v41, v41, v46
	v_add_f32_e32 v43, v43, v48
	v_add_f32_e32 v24, v24, v28
	v_add_f32_e32 v25, v25, v29
	v_fmamk_f32 v28, v9, 0xbf68dda4, v27
	v_fmac_f32_e32 v27, 0x3f68dda4, v9
	v_fmamk_f32 v29, v9, 0x3f7d64f0, v11
	v_fmac_f32_e32 v11, 0xbf7d64f0, v9
	v_mul_u32_u24_e32 v9, 0x2c0, v13
	v_add_f32_e32 v36, v36, v40
	v_add_f32_e32 v38, v38, v42
	;; [unrolled: 1-line block ×4, first 2 shown]
	v_or_b32_e32 v9, v9, v22
	v_add_f32_e32 v30, v30, v36
	v_add_f32_e32 v34, v34, v38
	;; [unrolled: 1-line block ×4, first 2 shown]
	v_lshl_add_u32 v9, v9, 2, 0
	v_add_f32_e32 v26, v26, v30
	v_add_f32_e32 v28, v28, v34
	;; [unrolled: 1-line block ×5, first 2 shown]
	ds_write2st64_b32 v9, v1, v21 offset1:1
	ds_write2st64_b32 v9, v24, v26 offset0:2 offset1:3
	ds_write2st64_b32 v9, v28, v29 offset0:4 offset1:5
	;; [unrolled: 1-line block ×4, first 2 shown]
	ds_write_b32 v9, v17 offset:2560
.LBB0_21:
	s_or_b64 exec, exec, s[2:3]
	s_waitcnt lgkmcnt(0)
	s_barrier
	s_and_saveexec_b64 s[0:1], vcc
	s_cbranch_execz .LBB0_23
; %bb.22:
	v_mov_b32_e32 v5, 0
	v_mov_b32_e32 v1, v5
	v_lshl_add_u64 v[22:23], v[0:1], 3, s[4:5]
	s_movk_i32 s2, 0x1000
	v_mov_b32_e32 v9, v5
	v_add_co_u32_e32 v22, vcc, s2, v22
	v_lshl_add_u64 v[8:9], v[8:9], 3, s[4:5]
	s_nop 0
	v_addc_co_u32_e32 v23, vcc, 0, v23, vcc
	v_add_co_u32_e32 v8, vcc, s2, v8
	v_mad_u64_u32 v[28:29], s[0:1], s8, v0, 0
	s_nop 0
	v_addc_co_u32_e32 v9, vcc, 0, v9, vcc
	global_load_dwordx2 v[24:25], v[22:23], off offset:1520
	global_load_dwordx2 v[26:27], v[8:9], off offset:1520
	ds_read_b32 v8, v44 offset:4928
	ds_read_b32 v11, v7
	ds_read_b32 v17, v32
	;; [unrolled: 1-line block ×3, first 2 shown]
	ds_read2st64_b32 v[22:23], v44 offset1:11
	v_mov_b32_e32 v7, v5
	v_lshl_add_u64 v[6:7], v[6:7], 3, s[4:5]
	v_add_co_u32_e32 v6, vcc, s2, v6
	v_lshl_add_u64 v[4:5], v[4:5], 3, s[4:5]
	s_nop 0
	v_addc_co_u32_e32 v7, vcc, 0, v7, vcc
	global_load_dwordx2 v[6:7], v[6:7], off offset:1520
	v_add_co_u32_e32 v4, vcc, s2, v4
	v_add_u32_e32 v9, 0x2c0, v0
	s_nop 0
	v_addc_co_u32_e32 v5, vcc, 0, v5, vcc
	global_load_dwordx2 v[4:5], v[4:5], off offset:1520
	v_add_u32_e32 v1, 0xd00, v44
	v_mov_b32_e32 v36, v29
	v_mad_u64_u32 v[38:39], s[0:1], s8, v9, 0
	v_mov_b32_e32 v30, v19
	v_mov_b32_e32 v32, v19
	v_add_u32_e32 v13, 0xb0, v0
	v_add_u32_e32 v19, 0x370, v0
	ds_read2_b32 v[34:35], v1 offset0:48 offset1:224
	v_mad_u64_u32 v[36:37], s[0:1], s9, v0, v[36:37]
	v_mov_b32_e32 v44, v39
	v_mad_u64_u32 v[40:41], s[0:1], s8, v13, 0
	v_mad_u64_u32 v[42:43], s[0:1], s8, v19, 0
	v_mov_b32_e32 v29, v36
	v_mad_u64_u32 v[36:37], s[0:1], s9, v9, v[44:45]
	v_add_u32_e32 v49, 0x160, v0
	v_mov_b32_e32 v46, v41
	v_mov_b32_e32 v48, v43
	;; [unrolled: 1-line block ×3, first 2 shown]
	v_mad_u64_u32 v[44:45], s[0:1], s9, v13, v[46:47]
	v_mad_u64_u32 v[46:47], s[0:1], s9, v19, v[48:49]
	v_lshl_add_u64 v[36:37], v[38:39], 3, v[2:3]
	s_waitcnt lgkmcnt(1)
	v_mov_b32_e32 v38, v23
	v_mov_b32_e32 v41, v44
	;; [unrolled: 1-line block ×3, first 2 shown]
	s_mov_b32 s6, 0xba2e8ba3
	v_mov_b32_e32 v19, v22
	v_lshl_add_u64 v[22:23], v[40:41], 3, v[2:3]
	v_lshl_add_u64 v[40:41], v[42:43], 3, v[2:3]
	v_mul_hi_u32 v1, v49, s6
	s_movk_i32 s3, 0x2c0
	v_lshrrev_b32_e32 v1, 9, v1
	v_lshl_add_u64 v[28:29], v[28:29], 3, v[2:3]
	v_mad_u32_u24 v1, v1, s3, v49
	v_add_u32_e32 v0, 0x210, v0
	s_waitcnt vmcnt(3)
	v_pk_mul_f32 v[38:39], v[38:39], v[24:25] op_sel_hi:[0,1]
	s_waitcnt vmcnt(2) lgkmcnt(0)
	v_pk_mul_f32 v[42:43], v[34:35], v[26:27] op_sel_hi:[0,1]
	v_pk_fma_f32 v[30:31], v[30:31], v[24:25], v[38:39] op_sel:[0,0,1] op_sel_hi:[1,1,0]
	v_pk_fma_f32 v[24:25], v[32:33], v[24:25], v[38:39] op_sel:[0,0,1] op_sel_hi:[0,1,0] neg_lo:[1,0,0] neg_hi:[1,0,0]
	v_pk_fma_f32 v[32:33], v[14:15], v[26:27], v[42:43] op_sel:[0,0,1] op_sel_hi:[1,1,0]
	v_pk_fma_f32 v[26:27], v[14:15], v[26:27], v[42:43] op_sel:[0,0,1] op_sel_hi:[0,1,0] neg_lo:[1,0,0] neg_hi:[1,0,0]
	v_mov_b32_e32 v31, v25
	v_mov_b32_e32 v33, v27
	v_pk_add_f32 v[24:25], v[18:19], v[30:31] neg_lo:[0,1] neg_hi:[0,1]
	v_pk_add_f32 v[26:27], v[20:21], v[32:33] neg_lo:[0,1] neg_hi:[0,1]
	v_pk_fma_f32 v[18:19], v[18:19], 2.0, v[24:25] op_sel_hi:[1,0,1] neg_lo:[0,0,1] neg_hi:[0,0,1]
	v_pk_fma_f32 v[20:21], v[20:21], 2.0, v[26:27] op_sel_hi:[1,0,1] neg_lo:[0,0,1] neg_hi:[0,0,1]
	global_store_dwordx2 v[28:29], v[18:19], off
	global_store_dwordx2 v[36:37], v[24:25], off
	;; [unrolled: 1-line block ×4, first 2 shown]
	v_mad_u64_u32 v[18:19], s[0:1], s8, v1, 0
	v_mov_b32_e32 v14, v19
	v_mad_u64_u32 v[20:21], s[0:1], s9, v1, v[14:15]
	v_add_u32_e32 v1, 0x2c0, v1
	v_mov_b32_e32 v19, v20
	v_mad_u64_u32 v[20:21], s[0:1], s8, v1, 0
	v_mov_b32_e32 v14, v21
	v_mad_u64_u32 v[22:23], s[0:1], s9, v1, v[14:15]
	v_mov_b32_e32 v14, v35
	v_mov_b32_e32 v21, v22
	s_waitcnt vmcnt(5)
	v_pk_mul_f32 v[22:23], v[14:15], v[6:7] op_sel_hi:[0,1]
	v_mov_b32_e32 v14, v15
	v_pk_fma_f32 v[24:25], v[14:15], v[6:7], v[22:23] op_sel:[0,0,1] op_sel_hi:[1,1,0]
	v_pk_fma_f32 v[6:7], v[14:15], v[6:7], v[22:23] op_sel:[0,0,1] op_sel_hi:[0,1,0] neg_lo:[1,0,0] neg_hi:[1,0,0]
	v_mul_hi_u32 v1, v0, s6
	v_mov_b32_e32 v25, v7
	v_lshrrev_b32_e32 v1, 9, v1
	v_pk_add_f32 v[6:7], v[16:17], v[24:25] neg_lo:[0,1] neg_hi:[0,1]
	v_mad_u32_u24 v9, v1, s3, v0
	v_lshl_add_u64 v[18:19], v[18:19], 3, v[2:3]
	v_pk_fma_f32 v[14:15], v[16:17], 2.0, v[6:7] op_sel_hi:[1,0,1] neg_lo:[0,0,1] neg_hi:[0,0,1]
	v_mad_u64_u32 v[0:1], s[0:1], s8, v9, 0
	v_lshl_add_u64 v[20:21], v[20:21], 3, v[2:3]
	global_store_dwordx2 v[18:19], v[14:15], off
	global_store_dwordx2 v[20:21], v[6:7], off
	v_mov_b32_e32 v6, v1
	v_mad_u64_u32 v[6:7], s[0:1], s9, v9, v[6:7]
	v_add_u32_e32 v9, 0x2c0, v9
	v_mov_b32_e32 v1, v6
	v_mad_u64_u32 v[6:7], s[0:1], s8, v9, 0
	v_mov_b32_e32 v14, v7
	v_mad_u64_u32 v[14:15], s[0:1], s9, v9, v[14:15]
	v_mov_b32_e32 v7, v14
	v_lshl_add_u64 v[0:1], v[0:1], 3, v[2:3]
	v_lshl_add_u64 v[2:3], v[6:7], 3, v[2:3]
	s_waitcnt vmcnt(6)
	v_pk_mul_f32 v[6:7], v[8:9], v[4:5] op_sel_hi:[0,1]
	v_pk_fma_f32 v[8:9], v[12:13], v[4:5], v[6:7] op_sel:[0,0,1] op_sel_hi:[1,1,0]
	v_pk_fma_f32 v[4:5], v[12:13], v[4:5], v[6:7] op_sel:[0,0,1] op_sel_hi:[0,1,0] neg_lo:[1,0,0] neg_hi:[1,0,0]
	v_mov_b32_e32 v9, v5
	v_pk_add_f32 v[4:5], v[10:11], v[8:9] neg_lo:[0,1] neg_hi:[0,1]
	s_nop 0
	v_pk_fma_f32 v[6:7], v[10:11], 2.0, v[4:5] op_sel_hi:[1,0,1] neg_lo:[0,0,1] neg_hi:[0,0,1]
	global_store_dwordx2 v[0:1], v[6:7], off
	global_store_dwordx2 v[2:3], v[4:5], off
.LBB0_23:
	s_endpgm
	.section	.rodata,"a",@progbits
	.p2align	6, 0x0
	.amdhsa_kernel fft_rtc_back_len1408_factors_2_2_2_2_2_2_11_2_wgs_176_tpt_176_halfLds_sp_ip_CI_sbrr_dirReg
		.amdhsa_group_segment_fixed_size 0
		.amdhsa_private_segment_fixed_size 0
		.amdhsa_kernarg_size 88
		.amdhsa_user_sgpr_count 2
		.amdhsa_user_sgpr_dispatch_ptr 0
		.amdhsa_user_sgpr_queue_ptr 0
		.amdhsa_user_sgpr_kernarg_segment_ptr 1
		.amdhsa_user_sgpr_dispatch_id 0
		.amdhsa_user_sgpr_kernarg_preload_length 0
		.amdhsa_user_sgpr_kernarg_preload_offset 0
		.amdhsa_user_sgpr_private_segment_size 0
		.amdhsa_uses_dynamic_stack 0
		.amdhsa_enable_private_segment 0
		.amdhsa_system_sgpr_workgroup_id_x 1
		.amdhsa_system_sgpr_workgroup_id_y 0
		.amdhsa_system_sgpr_workgroup_id_z 0
		.amdhsa_system_sgpr_workgroup_info 0
		.amdhsa_system_vgpr_workitem_id 0
		.amdhsa_next_free_vgpr 66
		.amdhsa_next_free_sgpr 24
		.amdhsa_accum_offset 68
		.amdhsa_reserve_vcc 1
		.amdhsa_float_round_mode_32 0
		.amdhsa_float_round_mode_16_64 0
		.amdhsa_float_denorm_mode_32 3
		.amdhsa_float_denorm_mode_16_64 3
		.amdhsa_dx10_clamp 1
		.amdhsa_ieee_mode 1
		.amdhsa_fp16_overflow 0
		.amdhsa_tg_split 0
		.amdhsa_exception_fp_ieee_invalid_op 0
		.amdhsa_exception_fp_denorm_src 0
		.amdhsa_exception_fp_ieee_div_zero 0
		.amdhsa_exception_fp_ieee_overflow 0
		.amdhsa_exception_fp_ieee_underflow 0
		.amdhsa_exception_fp_ieee_inexact 0
		.amdhsa_exception_int_div_zero 0
	.end_amdhsa_kernel
	.text
.Lfunc_end0:
	.size	fft_rtc_back_len1408_factors_2_2_2_2_2_2_11_2_wgs_176_tpt_176_halfLds_sp_ip_CI_sbrr_dirReg, .Lfunc_end0-fft_rtc_back_len1408_factors_2_2_2_2_2_2_11_2_wgs_176_tpt_176_halfLds_sp_ip_CI_sbrr_dirReg
                                        ; -- End function
	.section	.AMDGPU.csdata,"",@progbits
; Kernel info:
; codeLenInByte = 7728
; NumSgprs: 30
; NumVgprs: 66
; NumAgprs: 0
; TotalNumVgprs: 66
; ScratchSize: 0
; MemoryBound: 0
; FloatMode: 240
; IeeeMode: 1
; LDSByteSize: 0 bytes/workgroup (compile time only)
; SGPRBlocks: 3
; VGPRBlocks: 8
; NumSGPRsForWavesPerEU: 30
; NumVGPRsForWavesPerEU: 66
; AccumOffset: 68
; Occupancy: 7
; WaveLimiterHint : 1
; COMPUTE_PGM_RSRC2:SCRATCH_EN: 0
; COMPUTE_PGM_RSRC2:USER_SGPR: 2
; COMPUTE_PGM_RSRC2:TRAP_HANDLER: 0
; COMPUTE_PGM_RSRC2:TGID_X_EN: 1
; COMPUTE_PGM_RSRC2:TGID_Y_EN: 0
; COMPUTE_PGM_RSRC2:TGID_Z_EN: 0
; COMPUTE_PGM_RSRC2:TIDIG_COMP_CNT: 0
; COMPUTE_PGM_RSRC3_GFX90A:ACCUM_OFFSET: 16
; COMPUTE_PGM_RSRC3_GFX90A:TG_SPLIT: 0
	.text
	.p2alignl 6, 3212836864
	.fill 256, 4, 3212836864
	.type	__hip_cuid_29087ab9d20e7124,@object ; @__hip_cuid_29087ab9d20e7124
	.section	.bss,"aw",@nobits
	.globl	__hip_cuid_29087ab9d20e7124
__hip_cuid_29087ab9d20e7124:
	.byte	0                               ; 0x0
	.size	__hip_cuid_29087ab9d20e7124, 1

	.ident	"AMD clang version 19.0.0git (https://github.com/RadeonOpenCompute/llvm-project roc-6.4.0 25133 c7fe45cf4b819c5991fe208aaa96edf142730f1d)"
	.section	".note.GNU-stack","",@progbits
	.addrsig
	.addrsig_sym __hip_cuid_29087ab9d20e7124
	.amdgpu_metadata
---
amdhsa.kernels:
  - .agpr_count:     0
    .args:
      - .actual_access:  read_only
        .address_space:  global
        .offset:         0
        .size:           8
        .value_kind:     global_buffer
      - .offset:         8
        .size:           8
        .value_kind:     by_value
      - .actual_access:  read_only
        .address_space:  global
        .offset:         16
        .size:           8
        .value_kind:     global_buffer
      - .actual_access:  read_only
        .address_space:  global
        .offset:         24
        .size:           8
        .value_kind:     global_buffer
      - .offset:         32
        .size:           8
        .value_kind:     by_value
      - .actual_access:  read_only
        .address_space:  global
        .offset:         40
        .size:           8
        .value_kind:     global_buffer
      - .actual_access:  read_only
        .address_space:  global
        .offset:         48
        .size:           8
        .value_kind:     global_buffer
      - .offset:         56
        .size:           4
        .value_kind:     by_value
      - .actual_access:  read_only
        .address_space:  global
        .offset:         64
        .size:           8
        .value_kind:     global_buffer
      - .actual_access:  read_only
        .address_space:  global
        .offset:         72
        .size:           8
        .value_kind:     global_buffer
      - .address_space:  global
        .offset:         80
        .size:           8
        .value_kind:     global_buffer
    .group_segment_fixed_size: 0
    .kernarg_segment_align: 8
    .kernarg_segment_size: 88
    .language:       OpenCL C
    .language_version:
      - 2
      - 0
    .max_flat_workgroup_size: 176
    .name:           fft_rtc_back_len1408_factors_2_2_2_2_2_2_11_2_wgs_176_tpt_176_halfLds_sp_ip_CI_sbrr_dirReg
    .private_segment_fixed_size: 0
    .sgpr_count:     30
    .sgpr_spill_count: 0
    .symbol:         fft_rtc_back_len1408_factors_2_2_2_2_2_2_11_2_wgs_176_tpt_176_halfLds_sp_ip_CI_sbrr_dirReg.kd
    .uniform_work_group_size: 1
    .uses_dynamic_stack: false
    .vgpr_count:     66
    .vgpr_spill_count: 0
    .wavefront_size: 64
amdhsa.target:   amdgcn-amd-amdhsa--gfx950
amdhsa.version:
  - 1
  - 2
...

	.end_amdgpu_metadata
